;; amdgpu-corpus repo=ROCm/rocFFT kind=compiled arch=gfx906 opt=O3
	.text
	.amdgcn_target "amdgcn-amd-amdhsa--gfx906"
	.amdhsa_code_object_version 6
	.protected	fft_rtc_fwd_len400_factors_4_10_10_wgs_120_tpt_40_halfLds_sp_ip_CI_sbrr_dirReg ; -- Begin function fft_rtc_fwd_len400_factors_4_10_10_wgs_120_tpt_40_halfLds_sp_ip_CI_sbrr_dirReg
	.globl	fft_rtc_fwd_len400_factors_4_10_10_wgs_120_tpt_40_halfLds_sp_ip_CI_sbrr_dirReg
	.p2align	8
	.type	fft_rtc_fwd_len400_factors_4_10_10_wgs_120_tpt_40_halfLds_sp_ip_CI_sbrr_dirReg,@function
fft_rtc_fwd_len400_factors_4_10_10_wgs_120_tpt_40_halfLds_sp_ip_CI_sbrr_dirReg: ; @fft_rtc_fwd_len400_factors_4_10_10_wgs_120_tpt_40_halfLds_sp_ip_CI_sbrr_dirReg
; %bb.0:
	s_load_dwordx2 s[14:15], s[4:5], 0x18
	s_load_dwordx4 s[8:11], s[4:5], 0x0
	s_load_dwordx2 s[12:13], s[4:5], 0x50
	v_mul_u32_u24_e32 v1, 0x667, v0
	v_lshrrev_b32_e32 v1, 16, v1
	s_waitcnt lgkmcnt(0)
	s_load_dwordx2 s[2:3], s[14:15], 0x0
	v_mad_u64_u32 v[2:3], s[0:1], s6, 3, v[1:2]
	v_mov_b32_e32 v6, 0
	v_cmp_lt_u64_e64 s[0:1], s[10:11], 2
	v_mov_b32_e32 v3, v6
	v_mov_b32_e32 v4, 0
	;; [unrolled: 1-line block ×3, first 2 shown]
	s_and_b64 vcc, exec, s[0:1]
	v_mov_b32_e32 v5, 0
	v_mov_b32_e32 v10, v2
	s_cbranch_vccnz .LBB0_8
; %bb.1:
	s_load_dwordx2 s[0:1], s[4:5], 0x10
	s_add_u32 s6, s14, 8
	s_addc_u32 s7, s15, 0
	v_mov_b32_e32 v4, 0
	v_mov_b32_e32 v9, v3
	s_waitcnt lgkmcnt(0)
	s_add_u32 s18, s0, 8
	s_mov_b64 s[16:17], 1
	v_mov_b32_e32 v5, 0
	s_addc_u32 s19, s1, 0
	v_mov_b32_e32 v8, v2
.LBB0_2:                                ; =>This Inner Loop Header: Depth=1
	s_load_dwordx2 s[20:21], s[18:19], 0x0
                                        ; implicit-def: $vgpr10_vgpr11
	s_waitcnt lgkmcnt(0)
	v_or_b32_e32 v7, s21, v9
	v_cmp_ne_u64_e32 vcc, 0, v[6:7]
	s_and_saveexec_b64 s[0:1], vcc
	s_xor_b64 s[22:23], exec, s[0:1]
	s_cbranch_execz .LBB0_4
; %bb.3:                                ;   in Loop: Header=BB0_2 Depth=1
	v_cvt_f32_u32_e32 v1, s20
	v_cvt_f32_u32_e32 v3, s21
	s_sub_u32 s0, 0, s20
	s_subb_u32 s1, 0, s21
	v_mac_f32_e32 v1, 0x4f800000, v3
	v_rcp_f32_e32 v1, v1
	v_mul_f32_e32 v1, 0x5f7ffffc, v1
	v_mul_f32_e32 v3, 0x2f800000, v1
	v_trunc_f32_e32 v3, v3
	v_mac_f32_e32 v1, 0xcf800000, v3
	v_cvt_u32_f32_e32 v3, v3
	v_cvt_u32_f32_e32 v1, v1
	v_mul_lo_u32 v7, s0, v3
	v_mul_hi_u32 v10, s0, v1
	v_mul_lo_u32 v12, s1, v1
	v_mul_lo_u32 v11, s0, v1
	v_add_u32_e32 v7, v10, v7
	v_add_u32_e32 v7, v7, v12
	v_mul_hi_u32 v10, v1, v11
	v_mul_lo_u32 v12, v1, v7
	v_mul_hi_u32 v14, v1, v7
	v_mul_hi_u32 v13, v3, v11
	v_mul_lo_u32 v11, v3, v11
	v_mul_hi_u32 v15, v3, v7
	v_add_co_u32_e32 v10, vcc, v10, v12
	v_addc_co_u32_e32 v12, vcc, 0, v14, vcc
	v_mul_lo_u32 v7, v3, v7
	v_add_co_u32_e32 v10, vcc, v10, v11
	v_addc_co_u32_e32 v10, vcc, v12, v13, vcc
	v_addc_co_u32_e32 v11, vcc, 0, v15, vcc
	v_add_co_u32_e32 v7, vcc, v10, v7
	v_addc_co_u32_e32 v10, vcc, 0, v11, vcc
	v_add_co_u32_e32 v1, vcc, v1, v7
	v_addc_co_u32_e32 v3, vcc, v3, v10, vcc
	v_mul_lo_u32 v7, s0, v3
	v_mul_hi_u32 v10, s0, v1
	v_mul_lo_u32 v11, s1, v1
	v_mul_lo_u32 v12, s0, v1
	v_add_u32_e32 v7, v10, v7
	v_add_u32_e32 v7, v7, v11
	v_mul_lo_u32 v13, v1, v7
	v_mul_hi_u32 v14, v1, v12
	v_mul_hi_u32 v15, v1, v7
	;; [unrolled: 1-line block ×3, first 2 shown]
	v_mul_lo_u32 v12, v3, v12
	v_mul_hi_u32 v10, v3, v7
	v_add_co_u32_e32 v13, vcc, v14, v13
	v_addc_co_u32_e32 v14, vcc, 0, v15, vcc
	v_mul_lo_u32 v7, v3, v7
	v_add_co_u32_e32 v12, vcc, v13, v12
	v_addc_co_u32_e32 v11, vcc, v14, v11, vcc
	v_addc_co_u32_e32 v10, vcc, 0, v10, vcc
	v_add_co_u32_e32 v7, vcc, v11, v7
	v_addc_co_u32_e32 v10, vcc, 0, v10, vcc
	v_add_co_u32_e32 v1, vcc, v1, v7
	v_addc_co_u32_e32 v3, vcc, v3, v10, vcc
	v_mad_u64_u32 v[10:11], s[0:1], v8, v3, 0
	v_mul_hi_u32 v7, v8, v1
	v_mad_u64_u32 v[12:13], s[0:1], v9, v3, 0
	v_add_co_u32_e32 v7, vcc, v7, v10
	v_addc_co_u32_e32 v14, vcc, 0, v11, vcc
	v_mad_u64_u32 v[10:11], s[0:1], v9, v1, 0
	v_add_co_u32_e32 v1, vcc, v7, v10
	v_addc_co_u32_e32 v1, vcc, v14, v11, vcc
	v_addc_co_u32_e32 v3, vcc, 0, v13, vcc
	v_add_co_u32_e32 v1, vcc, v1, v12
	v_addc_co_u32_e32 v3, vcc, 0, v3, vcc
	v_mul_lo_u32 v7, s21, v1
	v_mul_lo_u32 v12, s20, v3
	v_mad_u64_u32 v[10:11], s[0:1], s20, v1, 0
	v_add3_u32 v7, v11, v12, v7
	v_sub_u32_e32 v11, v9, v7
	v_mov_b32_e32 v12, s21
	v_sub_co_u32_e32 v10, vcc, v8, v10
	v_subb_co_u32_e64 v11, s[0:1], v11, v12, vcc
	v_subrev_co_u32_e64 v12, s[0:1], s20, v10
	v_subbrev_co_u32_e64 v11, s[0:1], 0, v11, s[0:1]
	v_cmp_le_u32_e64 s[0:1], s21, v11
	v_cndmask_b32_e64 v13, 0, -1, s[0:1]
	v_cmp_le_u32_e64 s[0:1], s20, v12
	v_cndmask_b32_e64 v12, 0, -1, s[0:1]
	v_cmp_eq_u32_e64 s[0:1], s21, v11
	v_cndmask_b32_e64 v11, v13, v12, s[0:1]
	v_add_co_u32_e64 v12, s[0:1], 2, v1
	v_addc_co_u32_e64 v13, s[0:1], 0, v3, s[0:1]
	v_add_co_u32_e64 v14, s[0:1], 1, v1
	v_addc_co_u32_e64 v15, s[0:1], 0, v3, s[0:1]
	v_subb_co_u32_e32 v7, vcc, v9, v7, vcc
	v_cmp_ne_u32_e64 s[0:1], 0, v11
	v_cmp_le_u32_e32 vcc, s21, v7
	v_cndmask_b32_e64 v11, v15, v13, s[0:1]
	v_cndmask_b32_e64 v13, 0, -1, vcc
	v_cmp_le_u32_e32 vcc, s20, v10
	v_cndmask_b32_e64 v10, 0, -1, vcc
	v_cmp_eq_u32_e32 vcc, s21, v7
	v_cndmask_b32_e32 v7, v13, v10, vcc
	v_cmp_ne_u32_e32 vcc, 0, v7
	v_cndmask_b32_e32 v11, v3, v11, vcc
	v_cndmask_b32_e64 v3, v14, v12, s[0:1]
	v_cndmask_b32_e32 v10, v1, v3, vcc
.LBB0_4:                                ;   in Loop: Header=BB0_2 Depth=1
	s_andn2_saveexec_b64 s[0:1], s[22:23]
	s_cbranch_execz .LBB0_6
; %bb.5:                                ;   in Loop: Header=BB0_2 Depth=1
	v_cvt_f32_u32_e32 v1, s20
	s_sub_i32 s22, 0, s20
	v_mov_b32_e32 v11, v6
	v_rcp_iflag_f32_e32 v1, v1
	v_mul_f32_e32 v1, 0x4f7ffffe, v1
	v_cvt_u32_f32_e32 v1, v1
	v_mul_lo_u32 v3, s22, v1
	v_mul_hi_u32 v3, v1, v3
	v_add_u32_e32 v1, v1, v3
	v_mul_hi_u32 v1, v8, v1
	v_mul_lo_u32 v3, v1, s20
	v_add_u32_e32 v7, 1, v1
	v_sub_u32_e32 v3, v8, v3
	v_subrev_u32_e32 v10, s20, v3
	v_cmp_le_u32_e32 vcc, s20, v3
	v_cndmask_b32_e32 v3, v3, v10, vcc
	v_cndmask_b32_e32 v1, v1, v7, vcc
	v_add_u32_e32 v7, 1, v1
	v_cmp_le_u32_e32 vcc, s20, v3
	v_cndmask_b32_e32 v10, v1, v7, vcc
.LBB0_6:                                ;   in Loop: Header=BB0_2 Depth=1
	s_or_b64 exec, exec, s[0:1]
	v_mul_lo_u32 v1, v11, s20
	v_mul_lo_u32 v3, v10, s21
	v_mad_u64_u32 v[12:13], s[0:1], v10, s20, 0
	s_load_dwordx2 s[0:1], s[6:7], 0x0
	s_add_u32 s16, s16, 1
	v_add3_u32 v1, v13, v3, v1
	v_sub_co_u32_e32 v3, vcc, v8, v12
	v_subb_co_u32_e32 v1, vcc, v9, v1, vcc
	s_waitcnt lgkmcnt(0)
	v_mul_lo_u32 v1, s0, v1
	v_mul_lo_u32 v7, s1, v3
	v_mad_u64_u32 v[4:5], s[0:1], s0, v3, v[4:5]
	s_addc_u32 s17, s17, 0
	s_add_u32 s6, s6, 8
	v_add3_u32 v5, v7, v5, v1
	v_mov_b32_e32 v7, s10
	v_mov_b32_e32 v8, s11
	s_addc_u32 s7, s7, 0
	v_cmp_ge_u64_e32 vcc, s[16:17], v[7:8]
	s_add_u32 s18, s18, 8
	s_addc_u32 s19, s19, 0
	s_cbranch_vccnz .LBB0_8
; %bb.7:                                ;   in Loop: Header=BB0_2 Depth=1
	v_mov_b32_e32 v8, v10
	v_mov_b32_e32 v9, v11
	s_branch .LBB0_2
.LBB0_8:
	s_lshl_b64 s[0:1], s[10:11], 3
	s_add_u32 s0, s14, s0
	s_addc_u32 s1, s15, s1
	s_load_dwordx2 s[6:7], s[0:1], 0x0
	s_load_dwordx2 s[10:11], s[4:5], 0x20
	s_waitcnt lgkmcnt(0)
	v_mad_u64_u32 v[3:4], s[0:1], s6, v10, v[4:5]
	s_mov_b32 s0, 0x6666667
	v_mul_lo_u32 v1, s6, v11
	v_mul_lo_u32 v6, s7, v10
	v_mul_hi_u32 v5, v0, s0
	v_cmp_gt_u64_e32 vcc, s[10:11], v[10:11]
	v_cmp_le_u64_e64 s[0:1], s[10:11], v[10:11]
	v_add3_u32 v4, v6, v4, v1
	v_mul_u32_u24_e32 v1, 40, v5
	v_sub_u32_e32 v28, v0, v1
	v_add_u32_e32 v29, 40, v28
                                        ; implicit-def: $sgpr6
                                        ; implicit-def: $sgpr7
	s_and_saveexec_b64 s[4:5], s[0:1]
	s_xor_b64 s[0:1], exec, s[4:5]
; %bb.9:
	v_add_u32_e32 v29, 40, v28
	s_mov_b32 s7, 0
	s_mov_b32 s6, 0
; %bb.10:
	s_or_saveexec_b64 s[4:5], s[0:1]
	v_lshlrev_b64 v[0:1], 3, v[3:4]
	v_mov_b32_e32 v16, s7
	v_mov_b32_e32 v27, s6
	;; [unrolled: 1-line block ×5, first 2 shown]
                                        ; implicit-def: $vgpr4
                                        ; implicit-def: $vgpr6
                                        ; implicit-def: $vgpr8
                                        ; implicit-def: $vgpr10
                                        ; implicit-def: $vgpr12
                                        ; implicit-def: $vgpr14
                                        ; implicit-def: $vgpr22
                                        ; implicit-def: $vgpr26
                                        ; implicit-def: $vgpr24
                                        ; implicit-def: $vgpr20
	s_xor_b64 exec, exec, s[4:5]
	s_cbranch_execz .LBB0_14
; %bb.11:
	v_mad_u64_u32 v[3:4], s[0:1], s2, v28, 0
	v_add_u32_e32 v8, 0x64, v28
	v_mov_b32_e32 v7, s13
	v_mad_u64_u32 v[4:5], s[0:1], s3, v28, v[4:5]
	v_mad_u64_u32 v[5:6], s[0:1], s2, v8, 0
	v_add_co_u32_e64 v22, s[0:1], s12, v0
	v_addc_co_u32_e64 v26, s[0:1], v7, v1, s[0:1]
	v_mad_u64_u32 v[6:7], s[0:1], s3, v8, v[6:7]
	v_add_u32_e32 v11, 0xc8, v28
	v_mad_u64_u32 v[7:8], s[0:1], s2, v11, 0
	v_lshlrev_b64 v[3:4], 3, v[3:4]
	v_add_u32_e32 v21, 0x8c, v28
	v_add_co_u32_e64 v9, s[0:1], v22, v3
	v_addc_co_u32_e64 v10, s[0:1], v26, v4, s[0:1]
	v_lshlrev_b64 v[3:4], 3, v[5:6]
	v_mov_b32_e32 v5, v8
	v_mad_u64_u32 v[5:6], s[0:1], s3, v11, v[5:6]
	v_add_u32_e32 v6, 0x12c, v28
	v_mad_u64_u32 v[11:12], s[0:1], s2, v6, 0
	v_add_co_u32_e64 v13, s[0:1], v22, v3
	v_mov_b32_e32 v8, v5
	v_mov_b32_e32 v5, v12
	v_addc_co_u32_e64 v14, s[0:1], v26, v4, s[0:1]
	v_mad_u64_u32 v[5:6], s[0:1], s3, v6, v[5:6]
	v_lshlrev_b64 v[3:4], 3, v[7:8]
	v_add_co_u32_e64 v15, s[0:1], v22, v3
	v_mov_b32_e32 v12, v5
	v_addc_co_u32_e64 v16, s[0:1], v26, v4, s[0:1]
	v_lshlrev_b64 v[3:4], 3, v[11:12]
	v_mad_u64_u32 v[11:12], s[0:1], s2, v29, 0
	v_add_co_u32_e64 v17, s[0:1], v22, v3
	v_mov_b32_e32 v3, v12
	v_addc_co_u32_e64 v18, s[0:1], v26, v4, s[0:1]
	v_mad_u64_u32 v[23:24], s[0:1], s3, v29, v[3:4]
	v_mad_u64_u32 v[24:25], s[0:1], s2, v21, 0
	v_mov_b32_e32 v12, v23
	global_load_dwordx2 v[3:4], v[9:10], off
	global_load_dwordx2 v[5:6], v[13:14], off
	;; [unrolled: 1-line block ×4, first 2 shown]
	v_lshlrev_b64 v[9:10], 3, v[11:12]
	v_mov_b32_e32 v11, v25
	v_mad_u64_u32 v[11:12], s[0:1], s3, v21, v[11:12]
	v_add_u32_e32 v14, 0xf0, v28
	v_mad_u64_u32 v[12:13], s[0:1], s2, v14, 0
	v_add_co_u32_e64 v15, s[0:1], v22, v9
	v_mov_b32_e32 v25, v11
	v_mov_b32_e32 v11, v13
	v_addc_co_u32_e64 v16, s[0:1], v26, v10, s[0:1]
	v_mad_u64_u32 v[13:14], s[0:1], s3, v14, v[11:12]
	v_add_u32_e32 v14, 0x154, v28
	v_mad_u64_u32 v[17:18], s[0:1], s2, v14, 0
	v_lshlrev_b64 v[9:10], 3, v[24:25]
                                        ; implicit-def: $vgpr25
                                        ; implicit-def: $vgpr21
	v_add_co_u32_e64 v30, s[0:1], v22, v9
	v_mov_b32_e32 v11, v18
	v_addc_co_u32_e64 v31, s[0:1], v26, v10, s[0:1]
	v_lshlrev_b64 v[9:10], 3, v[12:13]
	v_mad_u64_u32 v[11:12], s[0:1], s3, v14, v[11:12]
	v_add_co_u32_e64 v32, s[0:1], v22, v9
	v_mov_b32_e32 v18, v11
	v_addc_co_u32_e64 v33, s[0:1], v26, v10, s[0:1]
	v_lshlrev_b64 v[9:10], 3, v[17:18]
	v_add_co_u32_e64 v17, s[0:1], v22, v9
	v_addc_co_u32_e64 v18, s[0:1], v26, v10, s[0:1]
	global_load_dwordx2 v[9:10], v[15:16], off
	global_load_dwordx2 v[11:12], v[30:31], off
	;; [unrolled: 1-line block ×4, first 2 shown]
	v_cmp_gt_u32_e64 s[0:1], 20, v28
	v_mov_b32_e32 v17, 0
	v_mov_b32_e32 v18, 0
	;; [unrolled: 1-line block ×4, first 2 shown]
	s_and_saveexec_b64 s[6:7], s[0:1]
	s_cbranch_execz .LBB0_13
; %bb.12:
	v_add_u32_e32 v21, 0x50, v28
	v_add_u32_e32 v25, 0xb4, v28
	v_mad_u64_u32 v[15:16], s[0:1], s2, v21, 0
	v_mad_u64_u32 v[17:18], s[0:1], s2, v25, 0
	;; [unrolled: 1-line block ×3, first 2 shown]
	v_add_u32_e32 v21, 0x118, v28
	v_mov_b32_e32 v16, v30
	s_waitcnt vmcnt(4)
	v_mad_u64_u32 v[30:31], s[0:1], s3, v25, v[18:19]
	v_mad_u64_u32 v[31:32], s[0:1], s2, v21, 0
	v_lshlrev_b64 v[15:16], 3, v[15:16]
	v_mov_b32_e32 v18, v30
	v_add_co_u32_e64 v33, s[0:1], v22, v15
	v_addc_co_u32_e64 v34, s[0:1], v26, v16, s[0:1]
	v_lshlrev_b64 v[15:16], 3, v[17:18]
	v_mov_b32_e32 v17, v32
	v_mad_u64_u32 v[17:18], s[0:1], s3, v21, v[17:18]
	v_add_u32_e32 v18, 0x17c, v28
	v_mad_u64_u32 v[35:36], s[0:1], s2, v18, 0
	v_add_co_u32_e64 v37, s[0:1], v22, v15
	v_mov_b32_e32 v32, v17
	v_mov_b32_e32 v17, v36
	v_addc_co_u32_e64 v38, s[0:1], v26, v16, s[0:1]
	v_mad_u64_u32 v[17:18], s[0:1], s3, v18, v[17:18]
	v_lshlrev_b64 v[15:16], 3, v[31:32]
	v_add_co_u32_e64 v30, s[0:1], v22, v15
	v_mov_b32_e32 v36, v17
	v_addc_co_u32_e64 v31, s[0:1], v26, v16, s[0:1]
	v_lshlrev_b64 v[15:16], 3, v[35:36]
	v_add_co_u32_e64 v35, s[0:1], v22, v15
	v_addc_co_u32_e64 v36, s[0:1], v26, v16, s[0:1]
	global_load_dwordx2 v[15:16], v[33:34], off
	global_load_dwordx2 v[17:18], v[37:38], off
	;; [unrolled: 1-line block ×4, first 2 shown]
.LBB0_13:
	s_or_b64 exec, exec, s[6:7]
	v_mov_b32_e32 v27, v28
.LBB0_14:
	s_or_b64 exec, exec, s[4:5]
	s_mov_b32 s0, 0xaaaaaaab
	v_mul_hi_u32 v30, v2, s0
	s_waitcnt vmcnt(5)
	v_sub_f32_e32 v34, v3, v7
	s_waitcnt vmcnt(4)
	v_sub_f32_e32 v7, v5, v19
	v_fma_f32 v3, v3, 2.0, -v34
	v_lshrrev_b32_e32 v19, 1, v30
	v_lshl_add_u32 v19, v19, 1, v19
	v_sub_u32_e32 v2, v2, v19
	v_mul_u32_u24_e32 v19, 0x190, v2
	v_fma_f32 v2, v5, 2.0, -v7
	v_sub_f32_e32 v20, v6, v20
	v_sub_f32_e32 v31, v3, v2
	v_fma_f32 v33, v3, 2.0, -v31
	v_sub_f32_e32 v32, v34, v20
	s_waitcnt vmcnt(1)
	v_sub_f32_e32 v13, v9, v13
	s_waitcnt vmcnt(0)
	v_sub_f32_e32 v3, v11, v23
	v_lshl_add_u32 v2, v28, 4, 0
	v_lshlrev_b32_e32 v19, 2, v19
	v_fma_f32 v34, v34, 2.0, -v32
	v_fma_f32 v9, v9, 2.0, -v13
	;; [unrolled: 1-line block ×3, first 2 shown]
	v_add_u32_e32 v30, v2, v19
	v_sub_f32_e32 v5, v12, v24
	ds_write2_b64 v30, v[33:34], v[31:32] offset1:1
	v_sub_f32_e32 v31, v9, v11
	v_fma_f32 v33, v9, 2.0, -v31
	v_sub_f32_e32 v32, v13, v5
	v_lshl_add_u32 v9, v29, 4, 0
	v_add_u32_e32 v11, 0x50, v28
	v_fma_f32 v34, v13, 2.0, -v32
	v_sub_f32_e32 v23, v17, v25
	v_sub_f32_e32 v24, v18, v26
	v_add_u32_e32 v26, v9, v19
	v_cmp_gt_u32_e64 s[0:1], 20, v28
	v_lshlrev_b32_e32 v25, 4, v11
	ds_write2_b64 v26, v[33:34], v[31:32] offset1:1
	s_and_saveexec_b64 s[4:5], s[0:1]
	s_cbranch_execz .LBB0_16
; %bb.15:
	v_sub_f32_e32 v11, v15, v21
	v_sub_f32_e32 v32, v11, v24
	v_fma_f32 v34, v11, 2.0, -v32
	v_fma_f32 v11, v15, 2.0, -v11
	;; [unrolled: 1-line block ×3, first 2 shown]
	v_sub_f32_e32 v31, v11, v13
	v_fma_f32 v33, v11, 2.0, -v31
	v_add3_u32 v11, 0, v25, v19
	ds_write2_b64 v11, v[33:34], v[31:32] offset1:1
.LBB0_16:
	s_or_b64 exec, exec, s[4:5]
	v_sub_f32_e32 v8, v4, v8
	v_fma_f32 v4, v4, 2.0, -v8
	v_fma_f32 v6, v6, 2.0, -v20
	v_sub_f32_e32 v31, v4, v6
	v_fma_f32 v33, v4, 2.0, -v31
	v_sub_f32_e32 v4, v10, v14
	v_add_f32_e32 v36, v4, v3
	v_lshlrev_b32_e32 v3, 2, v28
	v_fma_f32 v6, v10, 2.0, -v4
	v_add3_u32 v10, 0, v19, v3
	v_mul_i32_i24_e32 v3, -12, v29
	v_add3_u32 v11, v9, v3, v19
	v_mul_i32_i24_e32 v3, -12, v28
	v_fma_f32 v5, v12, 2.0, -v5
	v_add3_u32 v12, v2, v3, v19
	v_add_f32_e32 v32, v8, v7
	v_sub_f32_e32 v35, v6, v5
	v_add_u32_e32 v13, 0x200, v12
	v_add_u32_e32 v14, 0x400, v12
	v_fma_f32 v34, v8, 2.0, -v32
	v_fma_f32 v37, v6, 2.0, -v35
	;; [unrolled: 1-line block ×3, first 2 shown]
	s_waitcnt lgkmcnt(0)
	s_barrier
	ds_read_b32 v17, v10
	ds_read_b32 v20, v11
	ds_read2_b32 v[8:9], v12 offset0:80 offset1:120
	ds_read2_b32 v[6:7], v12 offset0:160 offset1:200
	;; [unrolled: 1-line block ×4, first 2 shown]
	s_waitcnt lgkmcnt(0)
	s_barrier
	ds_write2_b64 v30, v[33:34], v[31:32] offset1:1
	ds_write2_b64 v26, v[37:38], v[35:36] offset1:1
	s_and_saveexec_b64 s[4:5], s[0:1]
	s_cbranch_execz .LBB0_18
; %bb.17:
	v_sub_f32_e32 v22, v16, v22
	v_fma_f32 v16, v16, 2.0, -v22
	v_fma_f32 v15, v18, 2.0, -v24
	v_sub_f32_e32 v15, v16, v15
	v_fma_f32 v21, v16, 2.0, -v15
	v_add_f32_e32 v16, v22, v23
	v_fma_f32 v22, v22, 2.0, -v16
	v_add3_u32 v18, 0, v25, v19
	ds_write2_b64 v18, v[21:22], v[15:16] offset1:1
.LBB0_18:
	s_or_b64 exec, exec, s[4:5]
	v_and_b32_e32 v15, 3, v28
	v_mul_u32_u24_e32 v16, 9, v15
	v_lshlrev_b32_e32 v16, 3, v16
	s_waitcnt lgkmcnt(0)
	s_barrier
	global_load_dwordx4 v[21:24], v16, s[8:9]
	global_load_dwordx4 v[29:32], v16, s[8:9] offset:16
	global_load_dwordx4 v[33:36], v16, s[8:9] offset:32
	global_load_dwordx4 v[37:40], v16, s[8:9] offset:48
	global_load_dwordx2 v[25:26], v16, s[8:9] offset:64
	ds_read2_b32 v[41:42], v12 offset0:80 offset1:120
	ds_read_b32 v16, v11
	ds_read2_b32 v[43:44], v12 offset0:160 offset1:200
	ds_read2_b32 v[45:46], v13 offset0:112 offset1:152
	;; [unrolled: 1-line block ×3, first 2 shown]
	ds_read_b32 v18, v10
	s_mov_b32 s0, 0x3f737871
	s_mov_b32 s4, 0xbf737871
	;; [unrolled: 1-line block ×4, first 2 shown]
	s_waitcnt vmcnt(0) lgkmcnt(0)
	s_barrier
	v_mul_f32_e32 v49, v16, v22
	v_mul_f32_e32 v22, v20, v22
	;; [unrolled: 1-line block ×8, first 2 shown]
	v_fma_f32 v20, v20, v21, -v49
	v_fmac_f32_e32 v22, v16, v21
	v_fma_f32 v8, v8, v23, -v50
	v_fmac_f32_e32 v24, v41, v23
	v_mul_f32_e32 v21, v48, v26
	v_mul_f32_e32 v23, v3, v26
	v_fma_f32 v6, v6, v31, -v52
	v_fma_f32 v4, v4, v35, -v54
	v_mul_f32_e32 v53, v44, v34
	v_mul_f32_e32 v34, v7, v34
	;; [unrolled: 1-line block ×4, first 2 shown]
	v_fma_f32 v3, v3, v25, -v21
	v_fmac_f32_e32 v23, v48, v25
	v_add_f32_e32 v21, v17, v8
	v_add_f32_e32 v25, v6, v4
	v_mul_f32_e32 v51, v42, v30
	v_mul_f32_e32 v30, v9, v30
	v_fma_f32 v7, v7, v33, -v53
	v_fmac_f32_e32 v34, v44, v33
	v_fma_f32 v2, v2, v39, -v49
	v_fmac_f32_e32 v16, v47, v39
	v_sub_f32_e32 v26, v8, v6
	v_sub_f32_e32 v33, v6, v8
	;; [unrolled: 1-line block ×3, first 2 shown]
	v_fma_f32 v25, -0.5, v25, v17
	v_add_f32_e32 v6, v21, v6
	v_fma_f32 v9, v9, v29, -v51
	v_fmac_f32_e32 v30, v42, v29
	v_fmac_f32_e32 v32, v43, v31
	;; [unrolled: 1-line block ×3, first 2 shown]
	v_sub_f32_e32 v29, v2, v4
	v_sub_f32_e32 v35, v4, v2
	;; [unrolled: 1-line block ×3, first 2 shown]
	v_add_f32_e32 v4, v6, v4
	v_mov_b32_e32 v6, v25
	v_sub_f32_e32 v42, v32, v36
	v_fmac_f32_e32 v25, 0xbf737871, v41
	v_fmac_f32_e32 v6, 0x3f737871, v41
	v_add_f32_e32 v26, v26, v29
	v_fmac_f32_e32 v25, 0xbf167918, v42
	v_fmac_f32_e32 v6, 0x3f167918, v42
	v_add_f32_e32 v31, v8, v2
	v_add_f32_e32 v43, v32, v36
	v_fmac_f32_e32 v25, 0x3e9e377a, v26
	v_fmac_f32_e32 v6, 0x3e9e377a, v26
	v_add_f32_e32 v26, v24, v16
	v_sub_f32_e32 v8, v8, v2
	v_fmac_f32_e32 v17, -0.5, v31
	v_fma_f32 v21, -0.5, v43, v18
	v_add_f32_e32 v2, v4, v2
	v_add_f32_e32 v4, v18, v24
	v_fmac_f32_e32 v18, -0.5, v26
	v_mul_f32_e32 v55, v46, v38
	v_add_f32_e32 v29, v33, v35
	v_mov_b32_e32 v33, v17
	v_add_f32_e32 v4, v4, v32
	v_mov_b32_e32 v26, v18
	v_mul_f32_e32 v38, v5, v38
	v_fma_f32 v5, v5, v37, -v55
	v_fmac_f32_e32 v17, 0x3f737871, v42
	v_mov_b32_e32 v35, v21
	v_fmac_f32_e32 v33, 0xbf737871, v42
	v_add_f32_e32 v4, v4, v36
	v_fmac_f32_e32 v26, 0x3f737871, v40
	v_fmac_f32_e32 v18, 0xbf737871, v40
	;; [unrolled: 1-line block ×3, first 2 shown]
	v_sub_f32_e32 v37, v24, v32
	v_sub_f32_e32 v39, v16, v36
	v_fmac_f32_e32 v17, 0xbf167918, v41
	v_fmac_f32_e32 v33, 0x3f167918, v41
	;; [unrolled: 1-line block ×4, first 2 shown]
	v_sub_f32_e32 v24, v32, v24
	v_add_f32_e32 v4, v4, v16
	v_sub_f32_e32 v16, v36, v16
	v_fmac_f32_e32 v26, 0xbf167918, v8
	v_fmac_f32_e32 v18, 0x3f167918, v8
	v_add_f32_e32 v8, v7, v5
	v_fmac_f32_e32 v17, 0x3e9e377a, v29
	v_fmac_f32_e32 v33, 0x3e9e377a, v29
	v_add_f32_e32 v16, v24, v16
	v_fma_f32 v8, -0.5, v8, v20
	v_sub_f32_e32 v24, v9, v7
	v_sub_f32_e32 v29, v3, v5
	v_add_f32_e32 v31, v37, v39
	v_fmac_f32_e32 v35, 0xbf167918, v40
	v_fmac_f32_e32 v21, 0x3f167918, v40
	;; [unrolled: 1-line block ×4, first 2 shown]
	v_sub_f32_e32 v16, v30, v23
	v_add_f32_e32 v24, v24, v29
	v_mov_b32_e32 v29, v8
	v_fmac_f32_e32 v35, 0x3e9e377a, v31
	v_fmac_f32_e32 v21, 0x3e9e377a, v31
	;; [unrolled: 1-line block ×3, first 2 shown]
	v_sub_f32_e32 v31, v34, v38
	v_fmac_f32_e32 v8, 0xbf737871, v16
	v_fmac_f32_e32 v29, 0x3f167918, v31
	v_fmac_f32_e32 v8, 0xbf167918, v31
	v_add_f32_e32 v32, v9, v3
	v_fmac_f32_e32 v29, 0x3e9e377a, v24
	v_fmac_f32_e32 v8, 0x3e9e377a, v24
	v_add_f32_e32 v24, v20, v9
	v_fmac_f32_e32 v20, -0.5, v32
	v_sub_f32_e32 v32, v7, v9
	v_sub_f32_e32 v36, v5, v3
	v_add_f32_e32 v32, v32, v36
	v_mov_b32_e32 v36, v20
	v_fmac_f32_e32 v36, 0xbf737871, v31
	v_fmac_f32_e32 v20, 0x3f737871, v31
	;; [unrolled: 1-line block ×4, first 2 shown]
	v_add_f32_e32 v16, v24, v7
	v_add_f32_e32 v16, v16, v5
	;; [unrolled: 1-line block ×3, first 2 shown]
	v_sub_f32_e32 v3, v9, v3
	v_sub_f32_e32 v5, v7, v5
	;; [unrolled: 1-line block ×4, first 2 shown]
	v_add_f32_e32 v7, v7, v9
	v_add_f32_e32 v9, v34, v38
	v_fma_f32 v9, -0.5, v9, v22
	v_mov_b32_e32 v24, v9
	v_fmac_f32_e32 v24, 0xbf737871, v3
	v_fmac_f32_e32 v9, 0x3f737871, v3
	;; [unrolled: 1-line block ×6, first 2 shown]
	v_add_f32_e32 v7, v22, v30
	v_add_f32_e32 v31, v30, v23
	v_fmac_f32_e32 v22, -0.5, v31
	v_add_f32_e32 v7, v7, v34
	v_add_f32_e32 v7, v7, v38
	v_mov_b32_e32 v31, v22
	v_sub_f32_e32 v30, v34, v30
	v_add_f32_e32 v7, v7, v23
	v_sub_f32_e32 v23, v38, v23
	v_fmac_f32_e32 v31, 0x3f737871, v5
	v_fmac_f32_e32 v31, 0xbf167918, v3
	v_add_f32_e32 v23, v30, v23
	v_fmac_f32_e32 v31, 0x3e9e377a, v23
	v_fmac_f32_e32 v36, 0x3e9e377a, v32
	;; [unrolled: 1-line block ×3, first 2 shown]
	v_mul_f32_e32 v5, 0x3f167918, v24
	v_mul_f32_e32 v30, 0x3f737871, v31
	v_fmac_f32_e32 v20, 0x3e9e377a, v32
	v_fmac_f32_e32 v22, 0x3f167918, v3
	;; [unrolled: 1-line block ×4, first 2 shown]
	v_mul_f32_e32 v29, 0xbf167918, v29
	v_mul_f32_e32 v32, 0xbf737871, v36
	v_fmac_f32_e32 v22, 0x3e9e377a, v23
	v_add_f32_e32 v23, v6, v5
	v_fmac_f32_e32 v29, 0x3f4f1bbd, v24
	v_add_f32_e32 v24, v33, v30
	v_fmac_f32_e32 v32, 0x3e9e377a, v31
	v_mul_f32_e32 v31, 0x3e9e377a, v20
	v_sub_f32_e32 v5, v6, v5
	v_add_f32_e32 v34, v4, v7
	v_sub_f32_e32 v6, v33, v30
	v_sub_f32_e32 v33, v4, v7
	v_lshrrev_b32_e32 v4, 2, v28
	v_fma_f32 v31, v22, s0, -v31
	v_mul_f32_e32 v22, 0x3e9e377a, v22
	v_mul_u32_u24_e32 v4, 40, v4
	v_fma_f32 v20, v20, s4, -v22
	v_mul_f32_e32 v22, 0x3f4f1bbd, v8
	v_or_b32_e32 v4, v4, v15
	v_fma_f32 v22, v9, s1, -v22
	v_mul_f32_e32 v9, 0x3f4f1bbd, v9
	v_lshlrev_b32_e32 v4, 2, v4
	v_add_f32_e32 v3, v2, v16
	v_fma_f32 v8, v8, s5, -v9
	v_add_f32_e32 v9, v17, v31
	v_sub_f32_e32 v2, v2, v16
	v_add_f32_e32 v16, v25, v22
	v_add3_u32 v19, 0, v4, v19
	v_sub_f32_e32 v17, v17, v31
	v_sub_f32_e32 v22, v25, v22
	v_add_f32_e32 v25, v18, v20
	v_add_f32_e32 v36, v21, v8
	v_sub_f32_e32 v18, v18, v20
	v_sub_f32_e32 v20, v21, v8
	ds_write2_b32 v19, v3, v23 offset1:4
	ds_write2_b32 v19, v24, v9 offset0:8 offset1:12
	ds_write2_b32 v19, v16, v2 offset0:16 offset1:20
	;; [unrolled: 1-line block ×4, first 2 shown]
	s_waitcnt lgkmcnt(0)
	s_barrier
	ds_read_b32 v15, v10
	ds_read_b32 v16, v11
	ds_read2_b32 v[6:7], v12 offset0:80 offset1:120
	ds_read2_b32 v[8:9], v12 offset0:160 offset1:200
	;; [unrolled: 1-line block ×4, first 2 shown]
	v_add_f32_e32 v30, v35, v29
	v_add_f32_e32 v31, v26, v32
	v_sub_f32_e32 v29, v35, v29
	v_sub_f32_e32 v26, v26, v32
	s_waitcnt lgkmcnt(0)
	s_barrier
	ds_write2_b32 v19, v34, v30 offset1:4
	ds_write2_b32 v19, v31, v25 offset0:8 offset1:12
	ds_write2_b32 v19, v36, v33 offset0:16 offset1:20
	ds_write2_b32 v19, v29, v26 offset0:24 offset1:28
	ds_write2_b32 v19, v18, v20 offset0:32 offset1:36
	s_waitcnt lgkmcnt(0)
	s_barrier
	s_and_saveexec_b64 s[6:7], vcc
	s_cbranch_execz .LBB0_20
; %bb.19:
	v_mul_u32_u24_e32 v13, 9, v28
	v_lshlrev_b32_e32 v25, 3, v13
	global_load_dwordx4 v[17:20], v25, s[8:9] offset:320
	global_load_dwordx4 v[21:24], v25, s[8:9] offset:304
	;; [unrolled: 1-line block ×3, first 2 shown]
	global_load_dwordx2 v[13:14], v25, s[8:9] offset:352
	global_load_dwordx4 v[32:35], v25, s[8:9] offset:336
	v_add_u32_e32 v38, 0x200, v12
	ds_read2_b32 v[25:26], v12 offset0:160 offset1:200
	ds_read2_b32 v[36:37], v12 offset0:80 offset1:120
	v_add_u32_e32 v12, 0x400, v12
	ds_read2_b32 v[38:39], v38 offset0:112 offset1:152
	ds_read_b32 v40, v10
	ds_read_b32 v41, v11
	ds_read2_b32 v[10:11], v12 offset0:64 offset1:104
	s_waitcnt vmcnt(4)
	v_mul_f32_e32 v12, v2, v20
	s_waitcnt lgkmcnt(3)
	v_mul_f32_e32 v20, v38, v20
	v_mul_f32_e32 v42, v26, v18
	;; [unrolled: 1-line block ×3, first 2 shown]
	s_waitcnt vmcnt(3)
	v_mul_f32_e32 v43, v8, v24
	v_mul_f32_e32 v44, v37, v22
	;; [unrolled: 1-line block ×3, first 2 shown]
	s_waitcnt vmcnt(2)
	v_mul_f32_e32 v45, v6, v31
	s_waitcnt vmcnt(1) lgkmcnt(0)
	v_mul_f32_e32 v46, v11, v14
	v_mul_f32_e32 v14, v5, v14
	s_waitcnt vmcnt(0)
	v_mul_f32_e32 v47, v4, v35
	v_mul_f32_e32 v48, v39, v33
	;; [unrolled: 1-line block ×7, first 2 shown]
	v_fmac_f32_e32 v12, v38, v19
	v_fma_f32 v2, v2, v19, -v20
	v_fma_f32 v19, v9, v17, -v42
	v_fmac_f32_e32 v18, v17, v26
	v_fmac_f32_e32 v43, v25, v23
	v_fma_f32 v17, v7, v21, -v44
	v_fmac_f32_e32 v22, v21, v37
	v_fmac_f32_e32 v45, v36, v30
	;; [unrolled: 3-line block ×3, first 2 shown]
	v_fma_f32 v10, v3, v32, -v48
	v_fmac_f32_e32 v33, v32, v39
	v_mul_f32_e32 v29, v16, v29
	v_fma_f32 v8, v8, v23, -v24
	v_fma_f32 v6, v6, v30, -v31
	;; [unrolled: 1-line block ×3, first 2 shown]
	v_sub_f32_e32 v3, v45, v43
	v_sub_f32_e32 v5, v47, v12
	;; [unrolled: 1-line block ×6, first 2 shown]
	v_add_f32_e32 v30, v45, v47
	v_add_f32_e32 v3, v3, v5
	;; [unrolled: 1-line block ×4, first 2 shown]
	v_fma_f32 v23, -0.5, v30, v40
	v_fma_f32 v4, v4, v34, -v35
	v_fmac_f32_e32 v29, v28, v41
	v_sub_f32_e32 v7, v8, v2
	v_sub_f32_e32 v26, v43, v45
	;; [unrolled: 1-line block ×3, first 2 shown]
	v_add_f32_e32 v36, v22, v14
	v_mov_b32_e32 v30, v23
	v_sub_f32_e32 v9, v6, v4
	v_sub_f32_e32 v31, v19, v17
	;; [unrolled: 1-line block ×3, first 2 shown]
	v_add_f32_e32 v16, v26, v28
	v_fma_f32 v28, -0.5, v36, v29
	v_fmac_f32_e32 v23, 0x3f737871, v7
	v_fmac_f32_e32 v30, 0xbf737871, v7
	v_sub_f32_e32 v24, v19, v10
	v_add_f32_e32 v21, v31, v32
	v_mov_b32_e32 v31, v28
	v_fmac_f32_e32 v23, 0xbf167918, v9
	v_fmac_f32_e32 v30, 0x3f167918, v9
	v_sub_f32_e32 v25, v17, v20
	v_sub_f32_e32 v34, v18, v22
	;; [unrolled: 1-line block ×3, first 2 shown]
	v_fmac_f32_e32 v28, 0x3f737871, v24
	v_fmac_f32_e32 v31, 0xbf737871, v24
	;; [unrolled: 1-line block ×4, first 2 shown]
	v_add_f32_e32 v16, v17, v20
	v_add_f32_e32 v26, v34, v35
	v_fmac_f32_e32 v28, 0xbf167918, v25
	v_fmac_f32_e32 v31, 0x3f167918, v25
	v_fma_f32 v16, -0.5, v16, v11
	v_fmac_f32_e32 v31, 0x3e9e377a, v26
	v_fmac_f32_e32 v28, 0x3e9e377a, v26
	v_sub_f32_e32 v26, v18, v33
	v_mov_b32_e32 v32, v16
	v_fmac_f32_e32 v32, 0x3f737871, v26
	v_sub_f32_e32 v34, v22, v14
	v_fmac_f32_e32 v16, 0xbf737871, v26
	v_fmac_f32_e32 v32, 0xbf167918, v34
	;; [unrolled: 1-line block ×5, first 2 shown]
	v_add_f32_e32 v21, v43, v12
	v_fma_f32 v21, -0.5, v21, v40
	v_mov_b32_e32 v35, v21
	v_fmac_f32_e32 v35, 0x3f737871, v9
	v_fmac_f32_e32 v21, 0xbf737871, v9
	;; [unrolled: 1-line block ×6, first 2 shown]
	v_add_f32_e32 v3, v18, v33
	v_fma_f32 v7, -0.5, v3, v29
	v_mov_b32_e32 v9, v7
	v_fmac_f32_e32 v9, 0x3f737871, v25
	v_fmac_f32_e32 v7, 0xbf737871, v25
	;; [unrolled: 1-line block ×4, first 2 shown]
	v_add_f32_e32 v3, v19, v10
	v_fmac_f32_e32 v9, 0x3e9e377a, v13
	v_fmac_f32_e32 v7, 0x3e9e377a, v13
	v_fma_f32 v13, -0.5, v3, v11
	v_mov_b32_e32 v24, v13
	v_fmac_f32_e32 v24, 0xbf737871, v34
	v_fmac_f32_e32 v24, 0xbf167918, v26
	v_fmac_f32_e32 v13, 0x3f737871, v34
	v_fmac_f32_e32 v24, 0x3e9e377a, v5
	v_mul_f32_e32 v3, 0x3f4f1bbd, v9
	v_fmac_f32_e32 v13, 0x3f167918, v26
	v_fma_f32 v25, v24, s5, -v3
	v_add_f32_e32 v3, v22, v29
	v_fmac_f32_e32 v13, 0x3e9e377a, v5
	v_add_f32_e32 v5, v18, v3
	v_add_f32_e32 v5, v33, v5
	;; [unrolled: 1-line block ×3, first 2 shown]
	v_sub_f32_e32 v5, v6, v8
	v_sub_f32_e32 v18, v4, v2
	v_mul_f32_e32 v24, 0x3f4f1bbd, v24
	v_add_f32_e32 v18, v5, v18
	v_mul_f32_e32 v5, 0x3e9e377a, v31
	v_fma_f32 v24, v9, s1, -v24
	v_sub_f32_e32 v9, v8, v6
	v_sub_f32_e32 v33, v2, v4
	v_fma_f32 v22, v32, s4, -v5
	v_add_f32_e32 v5, v45, v40
	v_add_f32_e32 v9, v9, v33
	;; [unrolled: 1-line block ×4, first 2 shown]
	v_fma_f32 v33, -0.5, v33, v15
	v_mul_f32_e32 v32, 0x3e9e377a, v32
	v_add_f32_e32 v5, v12, v5
	v_sub_f32_e32 v12, v43, v12
	v_fma_f32 v31, v31, s0, -v32
	v_mov_b32_e32 v32, v33
	v_add_f32_e32 v26, v47, v5
	v_sub_f32_e32 v5, v45, v47
	v_fmac_f32_e32 v32, 0x3f737871, v12
	v_fmac_f32_e32 v33, 0xbf737871, v12
	v_fmac_f32_e32 v32, 0xbf167918, v5
	v_fmac_f32_e32 v33, 0x3f167918, v5
	v_mul_f32_e32 v29, 0xbf737871, v16
	v_fmac_f32_e32 v32, 0x3e9e377a, v9
	v_fmac_f32_e32 v33, 0x3e9e377a, v9
	v_add_f32_e32 v9, v8, v2
	v_fmac_f32_e32 v29, 0x3e9e377a, v28
	v_fma_f32 v34, -0.5, v9, v15
	v_mul_f32_e32 v28, 0x3f737871, v28
	v_fmac_f32_e32 v28, 0x3e9e377a, v16
	v_mov_b32_e32 v16, v34
	v_fmac_f32_e32 v16, 0xbf737871, v5
	v_fmac_f32_e32 v34, 0x3f737871, v5
	;; [unrolled: 1-line block ×6, first 2 shown]
	v_mul_f32_e32 v18, 0x3f167918, v7
	v_mul_f32_e32 v12, 0xbf167918, v13
	v_fmac_f32_e32 v18, 0x3f4f1bbd, v13
	v_add_f32_e32 v13, v17, v11
	v_add_f32_e32 v13, v19, v13
	v_fmac_f32_e32 v12, 0x3f4f1bbd, v7
	v_add_f32_e32 v10, v10, v13
	v_sub_f32_e32 v9, v21, v12
	v_add_f32_e32 v37, v20, v10
	v_add_f32_e32 v19, v21, v12
	v_mad_u64_u32 v[20:21], s[0:1], s2, v27, 0
	v_add_f32_e32 v6, v15, v6
	v_add_f32_e32 v6, v6, v8
	;; [unrolled: 1-line block ×4, first 2 shown]
	v_sub_f32_e32 v2, v16, v24
	v_add_f32_e32 v17, v23, v29
	v_add_f32_e32 v12, v16, v24
	v_mov_b32_e32 v16, v21
	v_sub_f32_e32 v5, v30, v22
	v_sub_f32_e32 v6, v33, v28
	v_add_f32_e32 v15, v30, v22
	v_mad_u64_u32 v[21:22], s[0:1], s3, v27, v[16:17]
	v_add_f32_e32 v16, v33, v28
	v_add_u32_e32 v28, 40, v27
	v_sub_f32_e32 v3, v35, v25
	v_add_f32_e32 v13, v35, v25
	v_mad_u64_u32 v[24:25], s[0:1], s2, v28, 0
	v_sub_f32_e32 v7, v23, v29
	v_sub_f32_e32 v11, v26, v14
	v_add_f32_e32 v23, v26, v14
	v_mov_b32_e32 v26, s13
	v_add_co_u32_e32 v29, vcc, s12, v0
	v_addc_co_u32_e32 v26, vcc, v26, v1, vcc
	v_lshlrev_b64 v[0:1], 3, v[20:21]
	v_mov_b32_e32 v20, v25
	v_mad_u64_u32 v[20:21], s[0:1], s3, v28, v[20:21]
	v_add_co_u32_e32 v0, vcc, v29, v0
	v_add_f32_e32 v22, v36, v37
	v_addc_co_u32_e32 v1, vcc, v26, v1, vcc
	global_store_dwordx2 v[0:1], v[22:23], off
	v_add_u32_e32 v22, 0x50, v27
	v_mov_b32_e32 v25, v20
	v_mad_u64_u32 v[20:21], s[0:1], s2, v22, 0
	v_lshlrev_b64 v[0:1], 3, v[24:25]
	v_add_u32_e32 v24, 0x78, v27
	v_mad_u64_u32 v[21:22], s[0:1], s3, v22, v[21:22]
	v_mad_u64_u32 v[22:23], s[0:1], s2, v24, 0
	v_add_co_u32_e32 v0, vcc, v29, v0
	v_sub_f32_e32 v8, v34, v18
	v_add_f32_e32 v18, v34, v18
	v_addc_co_u32_e32 v1, vcc, v26, v1, vcc
	global_store_dwordx2 v[0:1], v[18:19], off
	v_mov_b32_e32 v18, v23
	v_mad_u64_u32 v[18:19], s[0:1], s3, v24, v[18:19]
	v_lshlrev_b64 v[0:1], 3, v[20:21]
	v_add_u32_e32 v20, 0xc8, v27
	v_add_co_u32_e32 v0, vcc, v29, v0
	v_addc_co_u32_e32 v1, vcc, v26, v1, vcc
	v_mov_b32_e32 v23, v18
	v_add_u32_e32 v18, 0xa0, v27
	global_store_dwordx2 v[0:1], v[16:17], off
	v_mad_u64_u32 v[16:17], s[0:1], s2, v18, 0
	v_lshlrev_b64 v[0:1], 3, v[22:23]
	v_add_f32_e32 v14, v32, v31
	v_mad_u64_u32 v[17:18], s[0:1], s3, v18, v[17:18]
	v_mad_u64_u32 v[18:19], s[0:1], s2, v20, 0
	v_add_co_u32_e32 v0, vcc, v29, v0
	v_addc_co_u32_e32 v1, vcc, v26, v1, vcc
	global_store_dwordx2 v[0:1], v[14:15], off
	v_mov_b32_e32 v14, v19
	v_mad_u64_u32 v[14:15], s[0:1], s3, v20, v[14:15]
	v_lshlrev_b64 v[0:1], 3, v[16:17]
	v_add_u32_e32 v16, 0x118, v27
	v_add_co_u32_e32 v0, vcc, v29, v0
	v_addc_co_u32_e32 v1, vcc, v26, v1, vcc
	v_mov_b32_e32 v19, v14
	v_add_u32_e32 v14, 0xf0, v27
	global_store_dwordx2 v[0:1], v[12:13], off
	v_mad_u64_u32 v[12:13], s[0:1], s2, v14, 0
	v_lshlrev_b64 v[0:1], 3, v[18:19]
	v_sub_f32_e32 v10, v36, v37
	v_mad_u64_u32 v[13:14], s[0:1], s3, v14, v[13:14]
	v_mad_u64_u32 v[14:15], s[0:1], s2, v16, 0
	v_add_co_u32_e32 v0, vcc, v29, v0
	v_addc_co_u32_e32 v1, vcc, v26, v1, vcc
	global_store_dwordx2 v[0:1], v[10:11], off
	v_mov_b32_e32 v10, v15
	v_mad_u64_u32 v[10:11], s[0:1], s3, v16, v[10:11]
	v_lshlrev_b64 v[0:1], 3, v[12:13]
	v_add_u32_e32 v12, 0x168, v27
	v_add_co_u32_e32 v0, vcc, v29, v0
	v_addc_co_u32_e32 v1, vcc, v26, v1, vcc
	v_mov_b32_e32 v15, v10
	v_or_b32_e32 v10, 0x140, v27
	global_store_dwordx2 v[0:1], v[8:9], off
	v_mad_u64_u32 v[8:9], s[0:1], s2, v10, 0
	v_lshlrev_b64 v[0:1], 3, v[14:15]
	v_sub_f32_e32 v4, v32, v31
	v_mad_u64_u32 v[9:10], s[0:1], s3, v10, v[9:10]
	v_mad_u64_u32 v[10:11], s[0:1], s2, v12, 0
	v_add_co_u32_e32 v0, vcc, v29, v0
	v_addc_co_u32_e32 v1, vcc, v26, v1, vcc
	global_store_dwordx2 v[0:1], v[6:7], off
	v_mov_b32_e32 v6, v11
	v_mad_u64_u32 v[6:7], s[0:1], s3, v12, v[6:7]
	v_lshlrev_b64 v[0:1], 3, v[8:9]
	v_add_co_u32_e32 v0, vcc, v29, v0
	v_addc_co_u32_e32 v1, vcc, v26, v1, vcc
	v_mov_b32_e32 v11, v6
	global_store_dwordx2 v[0:1], v[4:5], off
	v_lshlrev_b64 v[0:1], 3, v[10:11]
	v_add_co_u32_e32 v0, vcc, v29, v0
	v_addc_co_u32_e32 v1, vcc, v26, v1, vcc
	global_store_dwordx2 v[0:1], v[2:3], off
.LBB0_20:
	s_endpgm
	.section	.rodata,"a",@progbits
	.p2align	6, 0x0
	.amdhsa_kernel fft_rtc_fwd_len400_factors_4_10_10_wgs_120_tpt_40_halfLds_sp_ip_CI_sbrr_dirReg
		.amdhsa_group_segment_fixed_size 0
		.amdhsa_private_segment_fixed_size 0
		.amdhsa_kernarg_size 88
		.amdhsa_user_sgpr_count 6
		.amdhsa_user_sgpr_private_segment_buffer 1
		.amdhsa_user_sgpr_dispatch_ptr 0
		.amdhsa_user_sgpr_queue_ptr 0
		.amdhsa_user_sgpr_kernarg_segment_ptr 1
		.amdhsa_user_sgpr_dispatch_id 0
		.amdhsa_user_sgpr_flat_scratch_init 0
		.amdhsa_user_sgpr_private_segment_size 0
		.amdhsa_uses_dynamic_stack 0
		.amdhsa_system_sgpr_private_segment_wavefront_offset 0
		.amdhsa_system_sgpr_workgroup_id_x 1
		.amdhsa_system_sgpr_workgroup_id_y 0
		.amdhsa_system_sgpr_workgroup_id_z 0
		.amdhsa_system_sgpr_workgroup_info 0
		.amdhsa_system_vgpr_workitem_id 0
		.amdhsa_next_free_vgpr 56
		.amdhsa_next_free_sgpr 24
		.amdhsa_reserve_vcc 1
		.amdhsa_reserve_flat_scratch 0
		.amdhsa_float_round_mode_32 0
		.amdhsa_float_round_mode_16_64 0
		.amdhsa_float_denorm_mode_32 3
		.amdhsa_float_denorm_mode_16_64 3
		.amdhsa_dx10_clamp 1
		.amdhsa_ieee_mode 1
		.amdhsa_fp16_overflow 0
		.amdhsa_exception_fp_ieee_invalid_op 0
		.amdhsa_exception_fp_denorm_src 0
		.amdhsa_exception_fp_ieee_div_zero 0
		.amdhsa_exception_fp_ieee_overflow 0
		.amdhsa_exception_fp_ieee_underflow 0
		.amdhsa_exception_fp_ieee_inexact 0
		.amdhsa_exception_int_div_zero 0
	.end_amdhsa_kernel
	.text
.Lfunc_end0:
	.size	fft_rtc_fwd_len400_factors_4_10_10_wgs_120_tpt_40_halfLds_sp_ip_CI_sbrr_dirReg, .Lfunc_end0-fft_rtc_fwd_len400_factors_4_10_10_wgs_120_tpt_40_halfLds_sp_ip_CI_sbrr_dirReg
                                        ; -- End function
	.section	.AMDGPU.csdata,"",@progbits
; Kernel info:
; codeLenInByte = 5748
; NumSgprs: 28
; NumVgprs: 56
; ScratchSize: 0
; MemoryBound: 0
; FloatMode: 240
; IeeeMode: 1
; LDSByteSize: 0 bytes/workgroup (compile time only)
; SGPRBlocks: 3
; VGPRBlocks: 13
; NumSGPRsForWavesPerEU: 28
; NumVGPRsForWavesPerEU: 56
; Occupancy: 4
; WaveLimiterHint : 1
; COMPUTE_PGM_RSRC2:SCRATCH_EN: 0
; COMPUTE_PGM_RSRC2:USER_SGPR: 6
; COMPUTE_PGM_RSRC2:TRAP_HANDLER: 0
; COMPUTE_PGM_RSRC2:TGID_X_EN: 1
; COMPUTE_PGM_RSRC2:TGID_Y_EN: 0
; COMPUTE_PGM_RSRC2:TGID_Z_EN: 0
; COMPUTE_PGM_RSRC2:TIDIG_COMP_CNT: 0
	.type	__hip_cuid_618834086b69cb1b,@object ; @__hip_cuid_618834086b69cb1b
	.section	.bss,"aw",@nobits
	.globl	__hip_cuid_618834086b69cb1b
__hip_cuid_618834086b69cb1b:
	.byte	0                               ; 0x0
	.size	__hip_cuid_618834086b69cb1b, 1

	.ident	"AMD clang version 19.0.0git (https://github.com/RadeonOpenCompute/llvm-project roc-6.4.0 25133 c7fe45cf4b819c5991fe208aaa96edf142730f1d)"
	.section	".note.GNU-stack","",@progbits
	.addrsig
	.addrsig_sym __hip_cuid_618834086b69cb1b
	.amdgpu_metadata
---
amdhsa.kernels:
  - .args:
      - .actual_access:  read_only
        .address_space:  global
        .offset:         0
        .size:           8
        .value_kind:     global_buffer
      - .offset:         8
        .size:           8
        .value_kind:     by_value
      - .actual_access:  read_only
        .address_space:  global
        .offset:         16
        .size:           8
        .value_kind:     global_buffer
      - .actual_access:  read_only
        .address_space:  global
        .offset:         24
        .size:           8
        .value_kind:     global_buffer
      - .offset:         32
        .size:           8
        .value_kind:     by_value
      - .actual_access:  read_only
        .address_space:  global
        .offset:         40
        .size:           8
        .value_kind:     global_buffer
      - .actual_access:  read_only
        .address_space:  global
        .offset:         48
        .size:           8
        .value_kind:     global_buffer
      - .offset:         56
        .size:           4
        .value_kind:     by_value
      - .actual_access:  read_only
        .address_space:  global
        .offset:         64
        .size:           8
        .value_kind:     global_buffer
      - .actual_access:  read_only
        .address_space:  global
        .offset:         72
        .size:           8
        .value_kind:     global_buffer
      - .address_space:  global
        .offset:         80
        .size:           8
        .value_kind:     global_buffer
    .group_segment_fixed_size: 0
    .kernarg_segment_align: 8
    .kernarg_segment_size: 88
    .language:       OpenCL C
    .language_version:
      - 2
      - 0
    .max_flat_workgroup_size: 120
    .name:           fft_rtc_fwd_len400_factors_4_10_10_wgs_120_tpt_40_halfLds_sp_ip_CI_sbrr_dirReg
    .private_segment_fixed_size: 0
    .sgpr_count:     28
    .sgpr_spill_count: 0
    .symbol:         fft_rtc_fwd_len400_factors_4_10_10_wgs_120_tpt_40_halfLds_sp_ip_CI_sbrr_dirReg.kd
    .uniform_work_group_size: 1
    .uses_dynamic_stack: false
    .vgpr_count:     56
    .vgpr_spill_count: 0
    .wavefront_size: 64
amdhsa.target:   amdgcn-amd-amdhsa--gfx906
amdhsa.version:
  - 1
  - 2
...

	.end_amdgpu_metadata
